;; amdgpu-corpus repo=ROCm/rocFFT kind=compiled arch=gfx1030 opt=O3
	.text
	.amdgcn_target "amdgcn-amd-amdhsa--gfx1030"
	.amdhsa_code_object_version 6
	.protected	fft_rtc_fwd_len2592_factors_6_6_6_6_2_wgs_216_tpt_216_halfLds_half_op_CI_CI_unitstride_sbrr_C2R_dirReg ; -- Begin function fft_rtc_fwd_len2592_factors_6_6_6_6_2_wgs_216_tpt_216_halfLds_half_op_CI_CI_unitstride_sbrr_C2R_dirReg
	.globl	fft_rtc_fwd_len2592_factors_6_6_6_6_2_wgs_216_tpt_216_halfLds_half_op_CI_CI_unitstride_sbrr_C2R_dirReg
	.p2align	8
	.type	fft_rtc_fwd_len2592_factors_6_6_6_6_2_wgs_216_tpt_216_halfLds_half_op_CI_CI_unitstride_sbrr_C2R_dirReg,@function
fft_rtc_fwd_len2592_factors_6_6_6_6_2_wgs_216_tpt_216_halfLds_half_op_CI_CI_unitstride_sbrr_C2R_dirReg: ; @fft_rtc_fwd_len2592_factors_6_6_6_6_2_wgs_216_tpt_216_halfLds_half_op_CI_CI_unitstride_sbrr_C2R_dirReg
; %bb.0:
	s_clause 0x2
	s_load_dwordx4 s[12:15], s[4:5], 0x0
	s_load_dwordx4 s[8:11], s[4:5], 0x58
	;; [unrolled: 1-line block ×3, first 2 shown]
	v_mul_u32_u24_e32 v1, 0x130, v0
	v_mov_b32_e32 v3, 0
	v_add_nc_u32_sdwa v5, s6, v1 dst_sel:DWORD dst_unused:UNUSED_PAD src0_sel:DWORD src1_sel:WORD_1
	v_mov_b32_e32 v1, 0
	v_mov_b32_e32 v6, v3
	v_mov_b32_e32 v2, 0
	s_waitcnt lgkmcnt(0)
	v_cmp_lt_u64_e64 s0, s[14:15], 2
	s_and_b32 vcc_lo, exec_lo, s0
	s_cbranch_vccnz .LBB0_8
; %bb.1:
	s_load_dwordx2 s[0:1], s[4:5], 0x10
	v_mov_b32_e32 v1, 0
	v_mov_b32_e32 v2, 0
	s_add_u32 s2, s18, 8
	s_addc_u32 s3, s19, 0
	s_add_u32 s6, s16, 8
	s_addc_u32 s7, s17, 0
	v_mov_b32_e32 v9, v2
	v_mov_b32_e32 v8, v1
	s_mov_b64 s[22:23], 1
	s_waitcnt lgkmcnt(0)
	s_add_u32 s20, s0, 8
	s_addc_u32 s21, s1, 0
.LBB0_2:                                ; =>This Inner Loop Header: Depth=1
	s_load_dwordx2 s[24:25], s[20:21], 0x0
                                        ; implicit-def: $vgpr12_vgpr13
	s_mov_b32 s0, exec_lo
	s_waitcnt lgkmcnt(0)
	v_or_b32_e32 v4, s25, v6
	v_cmpx_ne_u64_e32 0, v[3:4]
	s_xor_b32 s1, exec_lo, s0
	s_cbranch_execz .LBB0_4
; %bb.3:                                ;   in Loop: Header=BB0_2 Depth=1
	v_cvt_f32_u32_e32 v4, s24
	v_cvt_f32_u32_e32 v7, s25
	s_sub_u32 s0, 0, s24
	s_subb_u32 s26, 0, s25
	v_fmac_f32_e32 v4, 0x4f800000, v7
	v_rcp_f32_e32 v4, v4
	v_mul_f32_e32 v4, 0x5f7ffffc, v4
	v_mul_f32_e32 v7, 0x2f800000, v4
	v_trunc_f32_e32 v7, v7
	v_fmac_f32_e32 v4, 0xcf800000, v7
	v_cvt_u32_f32_e32 v7, v7
	v_cvt_u32_f32_e32 v4, v4
	v_mul_lo_u32 v10, s0, v7
	v_mul_hi_u32 v11, s0, v4
	v_mul_lo_u32 v12, s26, v4
	v_add_nc_u32_e32 v10, v11, v10
	v_mul_lo_u32 v11, s0, v4
	v_add_nc_u32_e32 v10, v10, v12
	v_mul_hi_u32 v12, v4, v11
	v_mul_lo_u32 v13, v4, v10
	v_mul_hi_u32 v14, v4, v10
	v_mul_hi_u32 v15, v7, v11
	v_mul_lo_u32 v11, v7, v11
	v_mul_hi_u32 v16, v7, v10
	v_mul_lo_u32 v10, v7, v10
	v_add_co_u32 v12, vcc_lo, v12, v13
	v_add_co_ci_u32_e32 v13, vcc_lo, 0, v14, vcc_lo
	v_add_co_u32 v11, vcc_lo, v12, v11
	v_add_co_ci_u32_e32 v11, vcc_lo, v13, v15, vcc_lo
	v_add_co_ci_u32_e32 v12, vcc_lo, 0, v16, vcc_lo
	v_add_co_u32 v10, vcc_lo, v11, v10
	v_add_co_ci_u32_e32 v11, vcc_lo, 0, v12, vcc_lo
	v_add_co_u32 v4, vcc_lo, v4, v10
	v_add_co_ci_u32_e32 v7, vcc_lo, v7, v11, vcc_lo
	v_mul_hi_u32 v10, s0, v4
	v_mul_lo_u32 v12, s26, v4
	v_mul_lo_u32 v11, s0, v7
	v_add_nc_u32_e32 v10, v10, v11
	v_mul_lo_u32 v11, s0, v4
	v_add_nc_u32_e32 v10, v10, v12
	v_mul_hi_u32 v12, v4, v11
	v_mul_lo_u32 v13, v4, v10
	v_mul_hi_u32 v14, v4, v10
	v_mul_hi_u32 v15, v7, v11
	v_mul_lo_u32 v11, v7, v11
	v_mul_hi_u32 v16, v7, v10
	v_mul_lo_u32 v10, v7, v10
	v_add_co_u32 v12, vcc_lo, v12, v13
	v_add_co_ci_u32_e32 v13, vcc_lo, 0, v14, vcc_lo
	v_add_co_u32 v11, vcc_lo, v12, v11
	v_add_co_ci_u32_e32 v11, vcc_lo, v13, v15, vcc_lo
	v_add_co_ci_u32_e32 v12, vcc_lo, 0, v16, vcc_lo
	v_add_co_u32 v10, vcc_lo, v11, v10
	v_add_co_ci_u32_e32 v11, vcc_lo, 0, v12, vcc_lo
	v_add_co_u32 v4, vcc_lo, v4, v10
	v_add_co_ci_u32_e32 v7, vcc_lo, v7, v11, vcc_lo
	v_mul_hi_u32 v16, v5, v4
	v_mad_u64_u32 v[12:13], null, v6, v4, 0
	v_mad_u64_u32 v[10:11], null, v5, v7, 0
	;; [unrolled: 1-line block ×3, first 2 shown]
	v_add_co_u32 v4, vcc_lo, v16, v10
	v_add_co_ci_u32_e32 v7, vcc_lo, 0, v11, vcc_lo
	v_add_co_u32 v4, vcc_lo, v4, v12
	v_add_co_ci_u32_e32 v4, vcc_lo, v7, v13, vcc_lo
	v_add_co_ci_u32_e32 v7, vcc_lo, 0, v15, vcc_lo
	v_add_co_u32 v4, vcc_lo, v4, v14
	v_add_co_ci_u32_e32 v7, vcc_lo, 0, v7, vcc_lo
	v_mul_lo_u32 v12, s25, v4
	v_mad_u64_u32 v[10:11], null, s24, v4, 0
	v_mul_lo_u32 v13, s24, v7
	v_sub_co_u32 v10, vcc_lo, v5, v10
	v_add3_u32 v11, v11, v13, v12
	v_sub_nc_u32_e32 v12, v6, v11
	v_subrev_co_ci_u32_e64 v12, s0, s25, v12, vcc_lo
	v_add_co_u32 v13, s0, v4, 2
	v_add_co_ci_u32_e64 v14, s0, 0, v7, s0
	v_sub_co_u32 v15, s0, v10, s24
	v_sub_co_ci_u32_e32 v11, vcc_lo, v6, v11, vcc_lo
	v_subrev_co_ci_u32_e64 v12, s0, 0, v12, s0
	v_cmp_le_u32_e32 vcc_lo, s24, v15
	v_cmp_eq_u32_e64 s0, s25, v11
	v_cndmask_b32_e64 v15, 0, -1, vcc_lo
	v_cmp_le_u32_e32 vcc_lo, s25, v12
	v_cndmask_b32_e64 v16, 0, -1, vcc_lo
	v_cmp_le_u32_e32 vcc_lo, s24, v10
	;; [unrolled: 2-line block ×3, first 2 shown]
	v_cndmask_b32_e64 v17, 0, -1, vcc_lo
	v_cmp_eq_u32_e32 vcc_lo, s25, v12
	v_cndmask_b32_e64 v10, v17, v10, s0
	v_cndmask_b32_e32 v12, v16, v15, vcc_lo
	v_add_co_u32 v15, vcc_lo, v4, 1
	v_add_co_ci_u32_e32 v16, vcc_lo, 0, v7, vcc_lo
	v_cmp_ne_u32_e32 vcc_lo, 0, v12
	v_cndmask_b32_e32 v11, v16, v14, vcc_lo
	v_cndmask_b32_e32 v12, v15, v13, vcc_lo
	v_cmp_ne_u32_e32 vcc_lo, 0, v10
	v_cndmask_b32_e32 v13, v7, v11, vcc_lo
	v_cndmask_b32_e32 v12, v4, v12, vcc_lo
.LBB0_4:                                ;   in Loop: Header=BB0_2 Depth=1
	s_andn2_saveexec_b32 s0, s1
	s_cbranch_execz .LBB0_6
; %bb.5:                                ;   in Loop: Header=BB0_2 Depth=1
	v_cvt_f32_u32_e32 v4, s24
	s_sub_i32 s1, 0, s24
	v_mov_b32_e32 v13, v3
	v_rcp_iflag_f32_e32 v4, v4
	v_mul_f32_e32 v4, 0x4f7ffffe, v4
	v_cvt_u32_f32_e32 v4, v4
	v_mul_lo_u32 v7, s1, v4
	v_mul_hi_u32 v7, v4, v7
	v_add_nc_u32_e32 v4, v4, v7
	v_mul_hi_u32 v4, v5, v4
	v_mul_lo_u32 v7, v4, s24
	v_add_nc_u32_e32 v10, 1, v4
	v_sub_nc_u32_e32 v7, v5, v7
	v_subrev_nc_u32_e32 v11, s24, v7
	v_cmp_le_u32_e32 vcc_lo, s24, v7
	v_cndmask_b32_e32 v7, v7, v11, vcc_lo
	v_cndmask_b32_e32 v4, v4, v10, vcc_lo
	v_cmp_le_u32_e32 vcc_lo, s24, v7
	v_add_nc_u32_e32 v10, 1, v4
	v_cndmask_b32_e32 v12, v4, v10, vcc_lo
.LBB0_6:                                ;   in Loop: Header=BB0_2 Depth=1
	s_or_b32 exec_lo, exec_lo, s0
	v_mul_lo_u32 v4, v13, s24
	v_mul_lo_u32 v7, v12, s25
	s_load_dwordx2 s[0:1], s[6:7], 0x0
	v_mad_u64_u32 v[10:11], null, v12, s24, 0
	s_load_dwordx2 s[24:25], s[2:3], 0x0
	s_add_u32 s22, s22, 1
	s_addc_u32 s23, s23, 0
	s_add_u32 s2, s2, 8
	s_addc_u32 s3, s3, 0
	s_add_u32 s6, s6, 8
	v_add3_u32 v4, v11, v7, v4
	v_sub_co_u32 v5, vcc_lo, v5, v10
	s_addc_u32 s7, s7, 0
	s_add_u32 s20, s20, 8
	v_sub_co_ci_u32_e32 v4, vcc_lo, v6, v4, vcc_lo
	s_addc_u32 s21, s21, 0
	s_waitcnt lgkmcnt(0)
	v_mul_lo_u32 v6, s0, v4
	v_mul_lo_u32 v7, s1, v5
	v_mad_u64_u32 v[1:2], null, s0, v5, v[1:2]
	v_mul_lo_u32 v4, s24, v4
	v_mul_lo_u32 v10, s25, v5
	v_mad_u64_u32 v[8:9], null, s24, v5, v[8:9]
	v_cmp_ge_u64_e64 s0, s[22:23], s[14:15]
	v_add3_u32 v2, v7, v2, v6
	v_add3_u32 v9, v10, v9, v4
	s_and_b32 vcc_lo, exec_lo, s0
	s_cbranch_vccnz .LBB0_9
; %bb.7:                                ;   in Loop: Header=BB0_2 Depth=1
	v_mov_b32_e32 v5, v12
	v_mov_b32_e32 v6, v13
	s_branch .LBB0_2
.LBB0_8:
	v_mov_b32_e32 v9, v2
	v_mov_b32_e32 v13, v6
	;; [unrolled: 1-line block ×4, first 2 shown]
.LBB0_9:
	s_load_dwordx2 s[0:1], s[4:5], 0x28
	v_mul_hi_u32 v5, 0x12f684c, v0
	s_lshl_b64 s[4:5], s[14:15], 3
                                        ; implicit-def: $vgpr10
                                        ; implicit-def: $vgpr3_vgpr4
	s_add_u32 s2, s18, s4
	s_addc_u32 s3, s19, s5
	s_waitcnt lgkmcnt(0)
	v_cmp_gt_u64_e32 vcc_lo, s[0:1], v[12:13]
	v_cmp_le_u64_e64 s0, s[0:1], v[12:13]
	s_and_saveexec_b32 s1, s0
	s_xor_b32 s0, exec_lo, s1
; %bb.10:
	v_mul_u32_u24_e32 v1, 0xd8, v5
	v_mov_b32_e32 v11, 0
                                        ; implicit-def: $vgpr5
	v_sub_nc_u32_e32 v10, v0, v1
                                        ; implicit-def: $vgpr0
                                        ; implicit-def: $vgpr1_vgpr2
	v_mov_b32_e32 v3, v10
	v_mov_b32_e32 v4, v11
; %bb.11:
	s_or_saveexec_b32 s1, s0
	s_load_dwordx2 s[2:3], s[2:3], 0x0
	s_xor_b32 exec_lo, exec_lo, s1
	s_cbranch_execz .LBB0_15
; %bb.12:
	s_add_u32 s4, s16, s4
	s_addc_u32 s5, s17, s5
	v_mul_u32_u24_e32 v5, 0xd8, v5
	s_load_dwordx2 s[4:5], s[4:5], 0x0
	v_lshlrev_b64 v[1:2], 2, v[1:2]
	v_mov_b32_e32 v11, 0
	v_sub_nc_u32_e32 v10, v0, v5
	v_lshlrev_b32_e32 v18, 2, v10
	s_waitcnt lgkmcnt(0)
	v_mul_lo_u32 v6, s5, v12
	v_mul_lo_u32 v7, s4, v13
	v_mad_u64_u32 v[3:4], null, s4, v12, 0
	s_mov_b32 s4, exec_lo
	v_add3_u32 v4, v4, v7, v6
	v_lshlrev_b64 v[3:4], 2, v[3:4]
	v_add_co_u32 v0, s0, s8, v3
	v_add_co_ci_u32_e64 v3, s0, s9, v4, s0
	v_add_co_u32 v0, s0, v0, v1
	v_add_co_ci_u32_e64 v1, s0, v3, v2, s0
	v_add_co_u32 v2, s0, v0, v18
	v_add_co_ci_u32_e64 v3, s0, 0, v1, s0
	v_add_co_u32 v4, s0, 0x800, v2
	v_add_co_ci_u32_e64 v5, s0, 0, v3, s0
	v_add_co_u32 v6, s0, 0x1000, v2
	v_add_co_ci_u32_e64 v7, s0, 0, v3, s0
	v_add_co_u32 v14, s0, 0x1800, v2
	v_add_co_ci_u32_e64 v15, s0, 0, v3, s0
	v_add_co_u32 v16, s0, 0x2000, v2
	v_add_co_ci_u32_e64 v17, s0, 0, v3, s0
	s_clause 0xb
	global_load_dword v19, v[2:3], off
	global_load_dword v20, v[2:3], off offset:864
	global_load_dword v2, v[2:3], off offset:1728
	;; [unrolled: 1-line block ×11, first 2 shown]
	v_add_nc_u32_e32 v17, 0, v18
	v_mov_b32_e32 v3, v10
	v_mov_b32_e32 v4, v11
	v_add_nc_u32_e32 v18, 0x680, v17
	v_add_nc_u32_e32 v24, 0xd00, v17
	;; [unrolled: 1-line block ×5, first 2 shown]
	s_waitcnt vmcnt(10)
	ds_write2_b32 v17, v19, v20 offset1:216
	s_waitcnt vmcnt(8)
	ds_write2_b32 v18, v2, v21 offset0:16 offset1:232
	s_waitcnt vmcnt(6)
	ds_write2_b32 v24, v5, v22 offset0:32 offset1:248
	;; [unrolled: 2-line block ×3, first 2 shown]
	s_waitcnt vmcnt(2)
	ds_write2_b32 v26, v7, v14 offset1:216
	s_waitcnt vmcnt(0)
	ds_write2_b32 v27, v15, v16 offset0:16 offset1:232
	v_cmpx_eq_u32_e32 0xd7, v10
	s_cbranch_execz .LBB0_14
; %bb.13:
	v_add_co_u32 v0, s0, 0x2800, v0
	v_add_co_ci_u32_e64 v1, s0, 0, v1, s0
	v_mov_b32_e32 v3, 0xd7
	v_mov_b32_e32 v4, 0
	;; [unrolled: 1-line block ×3, first 2 shown]
	global_load_dword v0, v[0:1], off offset:128
	s_waitcnt vmcnt(0)
	ds_write_b32 v11, v0 offset:10368
.LBB0_14:
	s_or_b32 exec_lo, exec_lo, s4
.LBB0_15:
	s_or_b32 exec_lo, exec_lo, s1
	v_lshlrev_b32_e32 v0, 2, v10
	s_waitcnt lgkmcnt(0)
	s_barrier
	buffer_gl0_inv
	v_lshlrev_b64 v[14:15], 2, v[3:4]
	v_add_nc_u32_e32 v18, 0, v0
	v_sub_nc_u32_e32 v0, 0, v0
	s_add_u32 s1, s12, 0x2868
	s_addc_u32 s4, s13, 0
	s_mov_b32 s5, exec_lo
	ds_read_u16 v5, v18
	ds_read_u16 v6, v0 offset:10368
	s_waitcnt lgkmcnt(0)
	v_add_f16_e32 v1, v6, v5
	v_sub_f16_e32 v2, v5, v6
	v_cmpx_ne_u32_e32 0, v10
	s_xor_b32 s5, exec_lo, s5
	s_cbranch_execz .LBB0_17
; %bb.16:
	v_add_co_u32 v1, s0, s1, v14
	v_add_co_ci_u32_e64 v2, s0, s4, v15, s0
	v_add_f16_e32 v4, v6, v5
	v_sub_f16_e32 v5, v5, v6
	global_load_dword v3, v[1:2], off
	ds_read_u16 v1, v0 offset:10370
	ds_read_u16 v2, v18 offset:2
	s_waitcnt lgkmcnt(0)
	v_add_f16_e32 v6, v1, v2
	v_sub_f16_e32 v1, v2, v1
	s_waitcnt vmcnt(0)
	v_lshrrev_b32_e32 v7, 16, v3
	v_fma_f16 v11, -v5, v7, v4
	v_fma_f16 v16, v6, v7, -v1
	v_fma_f16 v4, v5, v7, v4
	v_fma_f16 v2, v6, v7, v1
	v_fmac_f16_e32 v11, v3, v6
	v_fmac_f16_e32 v16, v5, v3
	v_fma_f16 v1, -v3, v6, v4
	v_fmac_f16_e32 v2, v5, v3
	v_pack_b32_f16 v4, v11, v16
	ds_write_b32 v0, v4 offset:10368
.LBB0_17:
	s_andn2_saveexec_b32 s0, s5
	s_cbranch_execz .LBB0_19
; %bb.18:
	v_mov_b32_e32 v3, 0
	ds_read_b32 v4, v3 offset:5184
	s_waitcnt lgkmcnt(0)
	v_pk_mul_f16 v4, 0xc0004000, v4
	ds_write_b32 v3, v4 offset:5184
.LBB0_19:
	s_or_b32 exec_lo, exec_lo, s0
	v_mov_b32_e32 v11, 0
	v_perm_b32 v1, v2, v1, 0x5040100
	v_and_b32_e32 v26, 0xff, v10
	v_add_nc_u32_e32 v24, 0xd8, v10
	v_mov_b32_e32 v25, 5
	v_lshlrev_b64 v[16:17], 2, v[10:11]
	v_add_co_u32 v3, s0, s1, v16
	v_add_co_ci_u32_e64 v4, s0, s4, v17, s0
	s_clause 0x1
	global_load_dword v7, v[3:4], off offset:864
	global_load_dword v19, v[3:4], off offset:1728
	v_add_co_u32 v5, s0, 0x800, v3
	v_add_co_ci_u32_e64 v6, s0, 0, v4, s0
	s_clause 0x1
	global_load_dword v20, v[5:6], off offset:544
	global_load_dword v5, v[5:6], off offset:1408
	v_add_co_u32 v3, s0, 0x1000, v3
	v_add_co_ci_u32_e64 v4, s0, 0, v4, s0
	ds_write_b32 v18, v1
	global_load_dword v3, v[3:4], off offset:224
	ds_read_b32 v1, v18 offset:864
	ds_read_b32 v2, v0 offset:9504
	s_waitcnt lgkmcnt(0)
	v_add_f16_e32 v4, v1, v2
	v_add_f16_sdwa v6, v2, v1 dst_sel:DWORD dst_unused:UNUSED_PAD src0_sel:WORD_1 src1_sel:WORD_1
	v_sub_f16_e32 v21, v1, v2
	v_sub_f16_sdwa v1, v1, v2 dst_sel:DWORD dst_unused:UNUSED_PAD src0_sel:WORD_1 src1_sel:WORD_1
	s_waitcnt vmcnt(4)
	v_lshrrev_b32_e32 v22, 16, v7
	v_fma_f16 v2, v21, v22, v4
	v_fma_f16 v23, v6, v22, v1
	v_fma_f16 v4, -v21, v22, v4
	v_fma_f16 v1, v6, v22, -v1
	v_fma_f16 v2, -v7, v6, v2
	v_fmac_f16_e32 v23, v21, v7
	v_fmac_f16_e32 v4, v7, v6
	;; [unrolled: 1-line block ×3, first 2 shown]
	v_pack_b32_f16 v2, v2, v23
	v_pack_b32_f16 v1, v4, v1
	s_waitcnt vmcnt(3)
	v_lshrrev_b32_e32 v4, 16, v19
	ds_write_b32 v18, v2 offset:864
	ds_write_b32 v0, v1 offset:9504
	ds_read_b32 v1, v18 offset:1728
	ds_read_b32 v2, v0 offset:8640
	s_waitcnt lgkmcnt(0)
	v_add_f16_e32 v6, v1, v2
	v_add_f16_sdwa v7, v2, v1 dst_sel:DWORD dst_unused:UNUSED_PAD src0_sel:WORD_1 src1_sel:WORD_1
	v_sub_f16_e32 v21, v1, v2
	v_sub_f16_sdwa v1, v1, v2 dst_sel:DWORD dst_unused:UNUSED_PAD src0_sel:WORD_1 src1_sel:WORD_1
	v_fma_f16 v2, v21, v4, v6
	v_fma_f16 v22, v7, v4, v1
	v_fma_f16 v6, -v21, v4, v6
	v_fma_f16 v1, v7, v4, -v1
	s_waitcnt vmcnt(2)
	v_lshrrev_b32_e32 v4, 16, v20
	v_fma_f16 v2, -v19, v7, v2
	v_fmac_f16_e32 v22, v21, v19
	v_fmac_f16_e32 v6, v19, v7
	;; [unrolled: 1-line block ×3, first 2 shown]
	v_pack_b32_f16 v2, v2, v22
	v_add_nc_u32_e32 v22, 0x1b00, v18
	v_pack_b32_f16 v1, v6, v1
	ds_write_b32 v18, v2 offset:1728
	ds_write_b32 v0, v1 offset:8640
	ds_read_b32 v1, v18 offset:2592
	ds_read_b32 v2, v0 offset:7776
	s_waitcnt lgkmcnt(0)
	v_add_f16_e32 v6, v1, v2
	v_add_f16_sdwa v7, v2, v1 dst_sel:DWORD dst_unused:UNUSED_PAD src0_sel:WORD_1 src1_sel:WORD_1
	v_sub_f16_e32 v19, v1, v2
	v_sub_f16_sdwa v1, v1, v2 dst_sel:DWORD dst_unused:UNUSED_PAD src0_sel:WORD_1 src1_sel:WORD_1
	v_fma_f16 v2, v19, v4, v6
	v_fma_f16 v21, v7, v4, v1
	v_fma_f16 v6, -v19, v4, v6
	v_fma_f16 v1, v7, v4, -v1
	s_waitcnt vmcnt(1)
	v_lshrrev_b32_e32 v4, 16, v5
	v_fma_f16 v2, -v20, v7, v2
	v_fmac_f16_e32 v21, v19, v20
	v_fmac_f16_e32 v6, v20, v7
	;; [unrolled: 1-line block ×3, first 2 shown]
	v_pack_b32_f16 v2, v2, v21
	v_add_nc_u32_e32 v21, 0x1400, v18
	v_pack_b32_f16 v1, v6, v1
	ds_write_b32 v18, v2 offset:2592
	ds_write_b32 v0, v1 offset:7776
	ds_read_b32 v1, v18 offset:3456
	ds_read_b32 v2, v0 offset:6912
	s_waitcnt lgkmcnt(0)
	v_add_f16_e32 v6, v1, v2
	v_add_f16_sdwa v7, v2, v1 dst_sel:DWORD dst_unused:UNUSED_PAD src0_sel:WORD_1 src1_sel:WORD_1
	v_sub_f16_e32 v19, v1, v2
	v_sub_f16_sdwa v1, v1, v2 dst_sel:DWORD dst_unused:UNUSED_PAD src0_sel:WORD_1 src1_sel:WORD_1
	v_fma_f16 v2, v19, v4, v6
	v_fma_f16 v20, v7, v4, v1
	v_fma_f16 v6, -v19, v4, v6
	v_fma_f16 v1, v7, v4, -v1
	s_waitcnt vmcnt(0)
	v_lshrrev_b32_e32 v4, 16, v3
	v_fma_f16 v2, -v5, v7, v2
	v_fmac_f16_e32 v20, v19, v5
	v_fmac_f16_e32 v6, v5, v7
	;; [unrolled: 1-line block ×3, first 2 shown]
	v_add_nc_u32_e32 v19, 0x680, v18
	v_pack_b32_f16 v2, v2, v20
	v_add_nc_u32_e32 v20, 0xd00, v18
	v_pack_b32_f16 v1, v6, v1
	ds_write_b32 v18, v2 offset:3456
	ds_write_b32 v0, v1 offset:6912
	ds_read_b32 v1, v18 offset:4320
	ds_read_b32 v2, v0 offset:6048
	s_waitcnt lgkmcnt(0)
	v_add_f16_e32 v5, v1, v2
	v_add_f16_sdwa v6, v2, v1 dst_sel:DWORD dst_unused:UNUSED_PAD src0_sel:WORD_1 src1_sel:WORD_1
	v_sub_f16_e32 v7, v1, v2
	v_sub_f16_sdwa v1, v1, v2 dst_sel:DWORD dst_unused:UNUSED_PAD src0_sel:WORD_1 src1_sel:WORD_1
	v_fma_f16 v2, v7, v4, v5
	v_fma_f16 v23, v6, v4, v1
	v_fma_f16 v5, -v7, v4, v5
	v_fma_f16 v1, v6, v4, -v1
	v_mul_lo_u16 v4, 0xab, v26
	v_fma_f16 v2, -v3, v6, v2
	v_fmac_f16_e32 v23, v7, v3
	v_fmac_f16_e32 v5, v3, v6
	v_fmac_f16_e32 v1, v7, v3
	v_mov_b32_e32 v3, 0xaaab
	v_lshrrev_b16 v32, 10, v4
	v_pack_b32_f16 v2, v2, v23
	v_add_nc_u32_e32 v23, 0x2180, v18
	v_pack_b32_f16 v1, v5, v1
	v_mul_u32_u24_sdwa v31, v24, v3 dst_sel:DWORD dst_unused:UNUSED_PAD src0_sel:WORD_0 src1_sel:DWORD
	ds_write_b32 v18, v2 offset:4320
	ds_write_b32 v0, v1 offset:6048
	s_waitcnt lgkmcnt(0)
	s_barrier
	buffer_gl0_inv
	s_barrier
	buffer_gl0_inv
	ds_read2_b32 v[0:1], v18 offset1:216
	ds_read2_b32 v[2:3], v19 offset0:16 offset1:232
	ds_read2_b32 v[4:5], v20 offset0:32 offset1:248
	;; [unrolled: 1-line block ×3, first 2 shown]
	ds_read2_b32 v[27:28], v22 offset1:216
	ds_read2_b32 v[29:30], v23 offset0:16 offset1:232
	v_mul_lo_u16 v33, v32, 6
	v_lshrrev_b32_e32 v34, 18, v31
	v_mad_u32_u24 v31, v10, 20, v18
	s_waitcnt lgkmcnt(0)
	s_barrier
	v_sub_nc_u16 v40, v10, v33
	v_mul_lo_u16 v33, v34, 6
	v_add_nc_u32_e32 v37, 0x1448, v31
	v_add_nc_u32_e32 v36, 0x1440, v31
	buffer_gl0_inv
	v_mul_u32_u24_sdwa v35, v40, v25 dst_sel:DWORD dst_unused:UNUSED_PAD src0_sel:BYTE_0 src1_sel:DWORD
	v_sub_nc_u16 v44, v24, v33
	v_add_nc_u32_e32 v38, 0x1450, v31
	v_mul_lo_u16 v26, v26, 57
	v_lshlrev_b32_e32 v33, 2, v35
	v_pk_add_f16 v35, v0, v4
	v_pk_add_f16 v39, v2, v6
	;; [unrolled: 1-line block ×3, first 2 shown]
	v_pk_add_f16 v4, v4, v27 neg_lo:[0,1] neg_hi:[0,1]
	v_pk_add_f16 v42, v6, v29
	v_pk_add_f16 v43, v1, v5
	;; [unrolled: 1-line block ×3, first 2 shown]
	v_pk_add_f16 v5, v5, v28 neg_lo:[0,1] neg_hi:[0,1]
	v_pk_add_f16 v47, v7, v30
	v_pk_add_f16 v6, v6, v29 neg_lo:[0,1] neg_hi:[0,1]
	v_pk_add_f16 v45, v3, v7
	v_pk_fma_f16 v0, v41, 0.5, v0 op_sel_hi:[1,0,1] neg_lo:[1,0,0] neg_hi:[1,0,0]
	v_pk_mul_f16 v4, 0x3aee, v4 op_sel_hi:[0,1]
	v_pk_fma_f16 v2, v42, 0.5, v2 op_sel_hi:[1,0,1] neg_lo:[1,0,0] neg_hi:[1,0,0]
	v_pk_add_f16 v7, v7, v30 neg_lo:[0,1] neg_hi:[0,1]
	v_pk_add_f16 v27, v35, v27
	v_pk_add_f16 v29, v39, v29
	v_pk_fma_f16 v1, v46, 0.5, v1 op_sel_hi:[1,0,1] neg_lo:[1,0,0] neg_hi:[1,0,0]
	v_pk_mul_f16 v5, 0x3aee, v5 op_sel_hi:[0,1]
	v_pk_fma_f16 v3, v47, 0.5, v3 op_sel_hi:[1,0,1] neg_lo:[1,0,0] neg_hi:[1,0,0]
	v_pk_add_f16 v28, v43, v28
	v_pk_add_f16 v30, v45, v30
	v_pk_add_f16 v39, v0, v4 op_sel:[0,1] op_sel_hi:[1,0]
	v_pk_add_f16 v0, v0, v4 op_sel:[0,1] op_sel_hi:[1,0] neg_lo:[0,1] neg_hi:[0,1]
	v_pk_fma_f16 v4, 0x3aee, v6, v2 op_sel:[0,0,1] op_sel_hi:[0,1,0]
	v_pk_fma_f16 v2, 0x3aee, v6, v2 op_sel:[0,0,1] op_sel_hi:[0,1,0] neg_lo:[0,1,0] neg_hi:[0,1,0]
	v_pk_add_f16 v35, v27, v29
	v_pk_add_f16 v6, v27, v29 neg_lo:[0,1] neg_hi:[0,1]
	v_pk_add_f16 v29, v1, v5 op_sel:[0,1] op_sel_hi:[1,0]
	v_pk_add_f16 v1, v1, v5 op_sel:[0,1] op_sel_hi:[1,0] neg_lo:[0,1] neg_hi:[0,1]
	v_pk_fma_f16 v5, 0x3aee, v7, v3 op_sel:[0,0,1] op_sel_hi:[0,1,0]
	v_pk_fma_f16 v3, 0x3aee, v7, v3 op_sel:[0,0,1] op_sel_hi:[0,1,0] neg_lo:[0,1,0] neg_hi:[0,1,0]
	v_pk_add_f16 v27, v28, v30
	v_pk_add_f16 v7, v28, v30 neg_lo:[0,1] neg_hi:[0,1]
	v_lshrrev_b32_e32 v30, 16, v4
	v_bfi_b32 v4, 0xffff, v4, v2
	v_mul_f16_e32 v41, 0x3aee, v2
	v_lshrrev_b32_e32 v43, 16, v5
	v_mul_f16_e32 v45, 0x3aee, v3
	v_bfi_b32 v5, 0xffff, v5, v3
	v_pk_mul_f16 v46, v4, 0.5 op_sel_hi:[1,0]
	v_fmac_f16_e32 v41, 0.5, v30
	v_mul_f16_e32 v30, 0xbaee, v30
	v_fmac_f16_e32 v45, 0.5, v43
	v_mul_f16_e32 v43, 0xbaee, v43
	v_pk_mul_f16 v47, v5, 0.5 op_sel_hi:[1,0]
	v_bfi_b32 v28, 0xffff, v0, v39
	v_fmac_f16_e32 v30, 0.5, v2
	v_pk_fma_f16 v2, 0xbaee3aee, v4, v46 op_sel:[0,0,1] op_sel_hi:[1,1,0] neg_lo:[0,0,1] neg_hi:[0,0,1]
	v_fmac_f16_e32 v43, 0.5, v3
	v_pk_fma_f16 v3, 0xbaee3aee, v5, v47 op_sel:[0,0,1] op_sel_hi:[1,1,0] neg_lo:[0,0,1] neg_hi:[0,0,1]
	v_add_f16_e32 v48, v39, v41
	v_sub_f16_e32 v4, v39, v41
	v_pk_add_f16 v28, v28, v2
	v_sub_f16_sdwa v39, v39, v2 dst_sel:DWORD dst_unused:UNUSED_PAD src0_sel:WORD_1 src1_sel:WORD_1
	v_pack_b32_f16 v2, v30, v2
	v_bfi_b32 v42, 0xffff, v1, v29
	v_add_f16_e32 v41, v29, v45
	v_sub_f16_e32 v5, v29, v45
	v_add_f16_sdwa v45, v0, v30 dst_sel:DWORD dst_unused:UNUSED_PAD src0_sel:WORD_1 src1_sel:DWORD
	v_add_f16_sdwa v30, v1, v43 dst_sel:DWORD dst_unused:UNUSED_PAD src0_sel:WORD_1 src1_sel:DWORD
	v_pack_b32_f16 v43, v43, v3
	v_pk_add_f16 v0, v0, v2 op_sel:[1,0] op_sel_hi:[0,1] neg_lo:[0,1] neg_hi:[0,1]
	v_pk_add_f16 v42, v42, v3
	v_sub_f16_sdwa v3, v29, v3 dst_sel:DWORD dst_unused:UNUSED_PAD src0_sel:WORD_1 src1_sel:WORD_1
	v_pack_b32_f16 v2, v48, v45
	v_pk_add_f16 v1, v1, v43 op_sel:[1,0] op_sel_hi:[0,1] neg_lo:[0,1] neg_hi:[0,1]
	ds_write2_b32 v31, v28, v6 offset0:2 offset1:3
	v_pack_b32_f16 v6, v41, v30
	v_alignbit_b32 v28, v39, v0, 16
	v_pack_b32_f16 v0, v4, v0
	v_alignbit_b32 v3, v3, v1, 16
	v_pack_b32_f16 v1, v5, v1
	ds_write2_b32 v37, v42, v7 offset1:1
	ds_write2_b32 v31, v35, v2 offset1:1
	;; [unrolled: 1-line block ×3, first 2 shown]
	ds_write2_b32 v31, v0, v28 offset0:4 offset1:5
	ds_write2_b32 v38, v1, v3 offset1:1
	s_waitcnt lgkmcnt(0)
	s_barrier
	buffer_gl0_inv
	global_load_dwordx4 v[4:7], v33, s[12:13]
	v_mul_u32_u24_sdwa v0, v44, v25 dst_sel:DWORD dst_unused:UNUSED_PAD src0_sel:WORD_0 src1_sel:DWORD
	v_mov_b32_e32 v29, 0x90
	v_lshrrev_b16 v26, 11, v26
	v_mul_u32_u24_e32 v46, 0x90, v34
	v_lshlrev_b32_e32 v27, 2, v0
	s_clause 0x2
	global_load_dwordx4 v[0:3], v27, s[12:13]
	global_load_dword v30, v33, s[12:13] offset:16
	global_load_dword v31, v27, s[12:13] offset:16
	v_mov_b32_e32 v27, 0xe38f
	v_mul_u32_u24_sdwa v45, v32, v29 dst_sel:DWORD dst_unused:UNUSED_PAD src0_sel:WORD_0 src1_sel:DWORD
	ds_read2_b32 v[32:33], v19 offset0:16 offset1:232
	ds_read2_b32 v[34:35], v20 offset0:32 offset1:248
	ds_read2_b32 v[36:37], v21 offset0:16 offset1:232
	ds_read2_b32 v[38:39], v22 offset1:216
	v_mul_lo_u16 v41, v26, 36
	v_mul_u32_u24_sdwa v27, v24, v27 dst_sel:DWORD dst_unused:UNUSED_PAD src0_sel:WORD_0 src1_sel:DWORD
	v_sub_nc_u16 v29, v10, v41
	v_lshrrev_b32_e32 v28, 21, v27
	v_mov_b32_e32 v27, 2
	v_mul_u32_u24_sdwa v48, v29, v25 dst_sel:DWORD dst_unused:UNUSED_PAD src0_sel:BYTE_0 src1_sel:DWORD
	v_mul_lo_u16 v42, v28, 36
	v_lshlrev_b32_sdwa v47, v27, v40 dst_sel:DWORD dst_unused:UNUSED_PAD src0_sel:DWORD src1_sel:BYTE_0
	v_lshlrev_b32_sdwa v44, v27, v44 dst_sel:DWORD dst_unused:UNUSED_PAD src0_sel:DWORD src1_sel:WORD_0
	v_lshlrev_b32_sdwa v29, v27, v29 dst_sel:DWORD dst_unused:UNUSED_PAD src0_sel:DWORD src1_sel:BYTE_0
	v_mul_u32_u24_e32 v28, 0x360, v28
	v_sub_nc_u16 v24, v24, v42
	ds_read2_b32 v[40:41], v23 offset0:16 offset1:232
	ds_read2_b32 v[42:43], v18 offset1:216
	v_add3_u32 v44, 0, v46, v44
	v_lshlrev_b32_e32 v46, 2, v48
	s_waitcnt lgkmcnt(5)
	v_lshrrev_b32_e32 v48, 16, v32
	s_waitcnt lgkmcnt(4)
	v_lshrrev_b32_e32 v49, 16, v34
	;; [unrolled: 2-line block ×3, first 2 shown]
	v_add3_u32 v45, 0, v45, v47
	v_lshrrev_b32_e32 v47, 16, v33
	s_waitcnt lgkmcnt(2)
	v_lshrrev_b32_e32 v51, 16, v38
	v_lshrrev_b32_e32 v53, 16, v37
	;; [unrolled: 1-line block ×4, first 2 shown]
	v_mul_u32_u24_sdwa v25, v24, v25 dst_sel:DWORD dst_unused:UNUSED_PAD src0_sel:WORD_0 src1_sel:DWORD
	s_waitcnt vmcnt(0) lgkmcnt(0)
	s_barrier
	buffer_gl0_inv
	v_lshlrev_b32_sdwa v24, v27, v24 dst_sel:DWORD dst_unused:UNUSED_PAD src0_sel:DWORD src1_sel:WORD_0
	v_lshlrev_b32_e32 v25, 2, v25
	v_lshrrev_b32_e32 v55, 16, v40
	v_lshrrev_b32_e32 v57, 16, v41
	;; [unrolled: 1-line block ×4, first 2 shown]
	v_add3_u32 v24, 0, v28, v24
	v_mul_f16_sdwa v59, v4, v32 dst_sel:DWORD dst_unused:UNUSED_PAD src0_sel:WORD_1 src1_sel:DWORD
	v_mul_f16_sdwa v61, v5, v34 dst_sel:DWORD dst_unused:UNUSED_PAD src0_sel:WORD_1 src1_sel:DWORD
	;; [unrolled: 1-line block ×5, first 2 shown]
	v_fmac_f16_e32 v59, v4, v48
	v_mul_f16_sdwa v48, v7, v38 dst_sel:DWORD dst_unused:UNUSED_PAD src0_sel:WORD_1 src1_sel:DWORD
	v_fmac_f16_e32 v61, v5, v49
	v_mul_f16_sdwa v49, v6, v50 dst_sel:DWORD dst_unused:UNUSED_PAD src0_sel:WORD_1 src1_sel:DWORD
	;; [unrolled: 2-line block ×3, first 2 shown]
	v_fmac_f16_e32 v48, v7, v51
	v_mul_f16_sdwa v51, v47, v0 dst_sel:DWORD dst_unused:UNUSED_PAD src0_sel:DWORD src1_sel:WORD_1
	v_fma_f16 v6, v6, v36, -v49
	v_mul_f16_sdwa v36, v53, v2 dst_sel:DWORD dst_unused:UNUSED_PAD src0_sel:DWORD src1_sel:WORD_1
	v_fma_f16 v4, v4, v32, -v60
	v_mul_f16_sdwa v32, v52, v1 dst_sel:DWORD dst_unused:UNUSED_PAD src0_sel:DWORD src1_sel:WORD_1
	v_mul_f16_sdwa v49, v54, v3 dst_sel:DWORD dst_unused:UNUSED_PAD src0_sel:DWORD src1_sel:WORD_1
	v_fma_f16 v5, v5, v34, -v62
	v_fma_f16 v7, v7, v38, -v50
	v_mul_f16_sdwa v34, v33, v0 dst_sel:DWORD dst_unused:UNUSED_PAD src0_sel:DWORD src1_sel:WORD_1
	v_fma_f16 v33, v33, v0, -v51
	v_mul_f16_sdwa v50, v37, v2 dst_sel:DWORD dst_unused:UNUSED_PAD src0_sel:DWORD src1_sel:WORD_1
	v_mul_f16_sdwa v51, v30, v55 dst_sel:DWORD dst_unused:UNUSED_PAD src0_sel:WORD_1 src1_sel:DWORD
	v_fma_f16 v36, v37, v2, -v36
	v_mul_f16_sdwa v37, v30, v40 dst_sel:DWORD dst_unused:UNUSED_PAD src0_sel:WORD_1 src1_sel:DWORD
	v_mul_f16_sdwa v38, v35, v1 dst_sel:DWORD dst_unused:UNUSED_PAD src0_sel:DWORD src1_sel:WORD_1
	v_fma_f16 v32, v35, v1, -v32
	v_mul_f16_sdwa v35, v39, v3 dst_sel:DWORD dst_unused:UNUSED_PAD src0_sel:DWORD src1_sel:WORD_1
	v_mul_f16_sdwa v60, v57, v31 dst_sel:DWORD dst_unused:UNUSED_PAD src0_sel:DWORD src1_sel:WORD_1
	v_fma_f16 v39, v39, v3, -v49
	v_mul_f16_sdwa v49, v41, v31 dst_sel:DWORD dst_unused:UNUSED_PAD src0_sel:DWORD src1_sel:WORD_1
	v_fmac_f16_e32 v34, v47, v0
	v_fmac_f16_e32 v37, v30, v55
	v_fma_f16 v0, v30, v40, -v51
	v_fmac_f16_e32 v38, v52, v1
	v_fmac_f16_e32 v50, v53, v2
	;; [unrolled: 1-line block ×3, first 2 shown]
	v_fma_f16 v1, v41, v31, -v60
	v_fmac_f16_e32 v49, v57, v31
	v_add_f16_e32 v2, v42, v5
	v_add_f16_e32 v3, v5, v7
	;; [unrolled: 1-line block ×6, first 2 shown]
	v_sub_f16_e32 v5, v5, v7
	v_add_f16_e32 v41, v4, v6
	v_sub_f16_e32 v51, v63, v37
	v_add_f16_e32 v52, v59, v63
	;; [unrolled: 2-line block ×3, first 2 shown]
	v_add_f16_e32 v38, v38, v35
	v_add_f16_e32 v62, v36, v1
	v_sub_f16_e32 v63, v50, v49
	v_add_f16_e32 v2, v2, v7
	v_add_f16_e32 v7, v34, v50
	;; [unrolled: 1-line block ×3, first 2 shown]
	v_sub_f16_e32 v30, v61, v48
	v_sub_f16_e32 v6, v6, v0
	v_fmac_f16_e32 v56, -0.5, v40
	v_fmac_f16_e32 v4, -0.5, v47
	;; [unrolled: 1-line block ×3, first 2 shown]
	v_fma_f16 v3, -0.5, v3, v42
	v_add_f16_e32 v54, v43, v32
	v_add_f16_e32 v61, v33, v36
	;; [unrolled: 1-line block ×3, first 2 shown]
	v_sub_f16_e32 v32, v32, v39
	v_sub_f16_e32 v36, v36, v1
	v_add_f16_e32 v31, v31, v48
	v_add_f16_e32 v0, v41, v0
	;; [unrolled: 1-line block ×3, first 2 shown]
	v_fmac_f16_e32 v58, -0.5, v38
	v_fmac_f16_e32 v33, -0.5, v62
	;; [unrolled: 1-line block ×3, first 2 shown]
	v_add_f16_e32 v35, v60, v35
	v_add_f16_e32 v7, v7, v49
	v_fmamk_f16 v38, v30, 0x3aee, v3
	v_fmac_f16_e32 v3, 0xbaee, v30
	v_fmamk_f16 v30, v5, 0xbaee, v56
	v_fmac_f16_e32 v56, 0x3aee, v5
	v_fmamk_f16 v5, v51, 0x3aee, v4
	v_fmamk_f16 v40, v6, 0xbaee, v59
	v_add_f16_e32 v39, v54, v39
	v_add_f16_e32 v1, v61, v1
	v_fmac_f16_e32 v4, 0xbaee, v51
	v_fmac_f16_e32 v59, 0x3aee, v6
	v_add_f16_e32 v6, v2, v0
	v_add_f16_e32 v41, v31, v37
	v_sub_f16_e32 v0, v2, v0
	v_sub_f16_e32 v2, v31, v37
	v_fmamk_f16 v37, v32, 0xbaee, v58
	v_fmac_f16_e32 v58, 0x3aee, v32
	v_fmamk_f16 v32, v63, 0x3aee, v33
	v_fmamk_f16 v42, v36, 0xbaee, v34
	v_fmac_f16_e32 v33, 0xbaee, v63
	v_fmac_f16_e32 v34, 0x3aee, v36
	v_add_f16_e32 v47, v35, v7
	v_sub_f16_e32 v7, v35, v7
	v_mul_f16_e32 v35, 0x3aee, v40
	v_mul_f16_e32 v48, 0xbaee, v5
	v_add_f16_e32 v36, v39, v1
	v_sub_f16_e32 v1, v39, v1
	v_mul_f16_e32 v39, -0.5, v4
	v_mul_f16_e32 v49, -0.5, v59
	v_fmac_f16_e32 v43, -0.5, v55
	v_mul_f16_e32 v50, 0x3aee, v42
	v_mul_f16_e32 v52, 0xbaee, v32
	v_mul_f16_e32 v51, -0.5, v33
	v_pack_b32_f16 v6, v6, v41
	v_mul_f16_e32 v41, -0.5, v34
	v_fmac_f16_e32 v35, 0.5, v5
	v_fmac_f16_e32 v48, 0.5, v40
	v_fmac_f16_e32 v39, 0x3aee, v59
	v_fmac_f16_e32 v49, 0xbaee, v4
	v_fmamk_f16 v31, v57, 0x3aee, v43
	v_fmac_f16_e32 v50, 0.5, v32
	v_fmac_f16_e32 v52, 0.5, v42
	v_fmac_f16_e32 v43, 0xbaee, v57
	v_fmac_f16_e32 v51, 0x3aee, v34
	;; [unrolled: 1-line block ×3, first 2 shown]
	v_pack_b32_f16 v1, v1, v7
	v_add_f16_e32 v4, v38, v35
	v_add_f16_e32 v7, v30, v48
	;; [unrolled: 1-line block ×4, first 2 shown]
	v_sub_f16_e32 v33, v38, v35
	v_sub_f16_e32 v3, v3, v39
	;; [unrolled: 1-line block ×4, first 2 shown]
	v_add_f16_e32 v35, v31, v50
	v_add_f16_e32 v38, v37, v52
	v_pack_b32_f16 v0, v0, v2
	v_pack_b32_f16 v2, v36, v47
	v_add_f16_e32 v36, v43, v51
	v_add_f16_e32 v39, v58, v41
	v_sub_f16_e32 v31, v31, v50
	v_sub_f16_e32 v40, v43, v51
	;; [unrolled: 1-line block ×4, first 2 shown]
	v_pack_b32_f16 v4, v4, v7
	v_pack_b32_f16 v5, v5, v32
	;; [unrolled: 1-line block ×8, first 2 shown]
	ds_write2_b32 v45, v6, v4 offset1:6
	ds_write2_b32 v45, v5, v0 offset0:12 offset1:18
	ds_write2_b32 v45, v7, v3 offset0:24 offset1:30
	ds_write2_b32 v44, v2, v30 offset1:6
	ds_write2_b32 v44, v32, v1 offset0:12 offset1:18
	ds_write2_b32 v44, v31, v33 offset0:24 offset1:30
	s_waitcnt lgkmcnt(0)
	s_barrier
	buffer_gl0_inv
	s_clause 0x3
	global_load_dwordx4 v[0:3], v46, s[12:13] offset:120
	global_load_dwordx4 v[4:7], v25, s[12:13] offset:120
	global_load_dword v40, v46, s[12:13] offset:136
	global_load_dword v41, v25, s[12:13] offset:136
	v_mov_b32_e32 v25, 0x360
	ds_read2_b32 v[30:31], v18 offset1:216
	ds_read2_b32 v[32:33], v19 offset0:16 offset1:232
	ds_read2_b32 v[34:35], v20 offset0:32 offset1:248
	;; [unrolled: 1-line block ×3, first 2 shown]
	ds_read2_b32 v[38:39], v22 offset1:216
	v_mul_u32_u24_e32 v42, 5, v10
	v_mul_u32_u24_sdwa v43, v26, v25 dst_sel:DWORD dst_unused:UNUSED_PAD src0_sel:WORD_0 src1_sel:DWORD
	ds_read2_b32 v[25:26], v23 offset0:16 offset1:232
	s_waitcnt vmcnt(0) lgkmcnt(0)
	v_lshlrev_b32_e32 v27, 2, v42
	s_barrier
	v_add3_u32 v29, 0, v43, v29
	buffer_gl0_inv
	v_lshrrev_b32_e32 v47, 16, v32
	v_lshrrev_b32_e32 v48, 16, v34
	;; [unrolled: 1-line block ×12, first 2 shown]
	v_mul_f16_sdwa v61, v43, v4 dst_sel:DWORD dst_unused:UNUSED_PAD src0_sel:DWORD src1_sel:WORD_1
	v_mul_f16_sdwa v53, v0, v32 dst_sel:DWORD dst_unused:UNUSED_PAD src0_sel:WORD_1 src1_sel:DWORD
	v_mul_f16_sdwa v54, v0, v47 dst_sel:DWORD dst_unused:UNUSED_PAD src0_sel:WORD_1 src1_sel:DWORD
	;; [unrolled: 1-line block ×9, first 2 shown]
	v_fmac_f16_e32 v53, v0, v47
	v_mul_f16_sdwa v47, v40, v25 dst_sel:DWORD dst_unused:UNUSED_PAD src0_sel:WORD_1 src1_sel:DWORD
	v_fmac_f16_e32 v55, v1, v48
	v_mul_f16_sdwa v48, v33, v4 dst_sel:DWORD dst_unused:UNUSED_PAD src0_sel:DWORD src1_sel:WORD_1
	v_fmac_f16_e32 v57, v2, v49
	v_mul_f16_sdwa v49, v35, v5 dst_sel:DWORD dst_unused:UNUSED_PAD src0_sel:DWORD src1_sel:WORD_1
	;; [unrolled: 2-line block ×3, first 2 shown]
	v_fma_f16 v0, v0, v32, -v54
	v_fma_f16 v2, v2, v36, -v59
	;; [unrolled: 1-line block ×3, first 2 shown]
	v_mul_f16_sdwa v32, v37, v6 dst_sel:DWORD dst_unused:UNUSED_PAD src0_sel:DWORD src1_sel:WORD_1
	v_mul_f16_sdwa v36, v39, v7 dst_sel:DWORD dst_unused:UNUSED_PAD src0_sel:DWORD src1_sel:WORD_1
	;; [unrolled: 1-line block ×5, first 2 shown]
	v_fma_f16 v1, v1, v34, -v56
	v_fmac_f16_e32 v47, v40, v51
	v_fma_f16 v25, v40, v25, -v62
	v_mul_f16_sdwa v34, v46, v7 dst_sel:DWORD dst_unused:UNUSED_PAD src0_sel:DWORD src1_sel:WORD_1
	v_fma_f16 v33, v33, v4, -v61
	v_fmac_f16_e32 v48, v43, v4
	v_fmac_f16_e32 v49, v44, v5
	v_fma_f16 v4, v37, v6, -v50
	v_fmac_f16_e32 v32, v45, v6
	v_fmac_f16_e32 v36, v46, v7
	v_fma_f16 v6, v26, v41, -v38
	v_fmac_f16_e32 v54, v52, v41
	v_fma_f16 v35, v35, v5, -v63
	v_add_f16_e32 v26, v1, v3
	v_add_f16_e32 v38, v55, v58
	;; [unrolled: 1-line block ×4, first 2 shown]
	v_fma_f16 v5, v39, v7, -v34
	v_add_f16_e32 v7, v30, v1
	v_sub_f16_e32 v34, v55, v58
	v_add_f16_e32 v37, v28, v55
	v_sub_f16_e32 v41, v57, v47
	;; [unrolled: 2-line block ×3, first 2 shown]
	v_add_f16_e32 v51, v42, v49
	v_add_f16_e32 v49, v49, v36
	;; [unrolled: 1-line block ×3, first 2 shown]
	v_sub_f16_e32 v56, v32, v54
	v_add_f16_e32 v57, v48, v32
	v_add_f16_e32 v32, v32, v54
	v_sub_f16_e32 v1, v1, v3
	v_add_f16_e32 v39, v0, v2
	v_sub_f16_e32 v2, v2, v25
	v_add_f16_e32 v45, v31, v35
	v_add_f16_e32 v52, v33, v4
	v_fma_f16 v26, -0.5, v26, v30
	v_fmac_f16_e32 v28, -0.5, v38
	v_fmac_f16_e32 v0, -0.5, v40
	;; [unrolled: 1-line block ×3, first 2 shown]
	v_add_f16_e32 v46, v35, v5
	v_sub_f16_e32 v35, v35, v5
	v_sub_f16_e32 v4, v4, v6
	v_add_f16_e32 v3, v7, v3
	v_add_f16_e32 v7, v37, v58
	;; [unrolled: 1-line block ×3, first 2 shown]
	v_fmac_f16_e32 v42, -0.5, v49
	v_fmac_f16_e32 v33, -0.5, v55
	;; [unrolled: 1-line block ×3, first 2 shown]
	v_add_f16_e32 v5, v45, v5
	v_add_f16_e32 v36, v51, v36
	;; [unrolled: 1-line block ×4, first 2 shown]
	v_fmamk_f16 v32, v34, 0x3aee, v26
	v_fmac_f16_e32 v26, 0xbaee, v34
	v_fmamk_f16 v34, v1, 0xbaee, v28
	v_fmac_f16_e32 v28, 0x3aee, v1
	v_fmamk_f16 v1, v41, 0x3aee, v0
	v_fmamk_f16 v38, v2, 0xbaee, v53
	v_fmac_f16_e32 v0, 0xbaee, v41
	v_fmac_f16_e32 v53, 0x3aee, v2
	v_add_f16_e32 v25, v39, v25
	v_add_f16_e32 v39, v7, v30
	v_sub_f16_e32 v7, v7, v30
	v_fmamk_f16 v30, v35, 0xbaee, v42
	v_fmac_f16_e32 v42, 0x3aee, v35
	v_fmamk_f16 v35, v56, 0x3aee, v33
	v_fmamk_f16 v40, v4, 0xbaee, v48
	v_fmac_f16_e32 v33, 0xbaee, v56
	v_fmac_f16_e32 v48, 0x3aee, v4
	v_add_f16_e32 v4, v5, v6
	v_add_f16_e32 v41, v36, v37
	v_sub_f16_e32 v5, v5, v6
	v_sub_f16_e32 v6, v36, v37
	v_mul_f16_e32 v36, 0x3aee, v38
	v_mul_f16_e32 v43, 0xbaee, v1
	v_mul_f16_e32 v37, -0.5, v0
	v_mul_f16_e32 v44, -0.5, v53
	v_fmac_f16_e32 v31, -0.5, v46
	v_mul_f16_e32 v45, 0x3aee, v40
	v_mul_f16_e32 v47, 0xbaee, v35
	v_mul_f16_e32 v46, -0.5, v33
	v_mul_f16_e32 v49, -0.5, v48
	v_fmac_f16_e32 v36, 0.5, v1
	v_fmac_f16_e32 v43, 0.5, v38
	v_add_f16_e32 v2, v3, v25
	v_sub_f16_e32 v3, v3, v25
	v_fmac_f16_e32 v37, 0x3aee, v53
	v_fmac_f16_e32 v44, 0xbaee, v0
	v_fmamk_f16 v25, v50, 0x3aee, v31
	v_fmac_f16_e32 v45, 0.5, v35
	v_fmac_f16_e32 v47, 0.5, v40
	v_fmac_f16_e32 v31, 0xbaee, v50
	v_fmac_f16_e32 v46, 0x3aee, v48
	;; [unrolled: 1-line block ×3, first 2 shown]
	v_pack_b32_f16 v5, v5, v6
	v_add_f16_e32 v0, v32, v36
	v_add_f16_e32 v6, v34, v43
	v_pack_b32_f16 v3, v3, v7
	v_add_f16_e32 v1, v26, v37
	v_add_f16_e32 v7, v28, v44
	v_sub_f16_e32 v32, v32, v36
	v_sub_f16_e32 v26, v26, v37
	;; [unrolled: 1-line block ×4, first 2 shown]
	v_add_f16_e32 v34, v25, v45
	v_add_f16_e32 v36, v30, v47
	;; [unrolled: 1-line block ×4, first 2 shown]
	v_pack_b32_f16 v2, v2, v39
	v_sub_f16_e32 v25, v25, v45
	v_sub_f16_e32 v31, v31, v46
	;; [unrolled: 1-line block ×4, first 2 shown]
	v_pack_b32_f16 v0, v0, v6
	v_pack_b32_f16 v1, v1, v7
	;; [unrolled: 1-line block ×9, first 2 shown]
	ds_write2_b32 v29, v2, v0 offset1:36
	ds_write2_b32 v29, v1, v3 offset0:72 offset1:108
	ds_write2_b32 v29, v6, v7 offset0:144 offset1:180
	ds_write2_b32 v24, v4, v26 offset1:36
	ds_write2_b32 v24, v28, v5 offset0:72 offset1:108
	ds_write2_b32 v24, v25, v30 offset0:144 offset1:180
	s_waitcnt lgkmcnt(0)
	s_barrier
	buffer_gl0_inv
	s_clause 0x1
	global_load_dwordx4 v[0:3], v27, s[12:13] offset:840
	global_load_dword v36, v27, s[12:13] offset:856
	v_add_co_u32 v4, s0, s12, v14
	v_add_co_ci_u32_e64 v5, s0, s13, v15, s0
	v_add_co_u32 v4, s0, 0x1000, v4
	v_add_co_ci_u32_e64 v5, s0, 0, v5, s0
	;; [unrolled: 2-line block ×3, first 2 shown]
	ds_read2_b32 v[6:7], v18 offset1:216
	ds_read2_b32 v[14:15], v19 offset0:16 offset1:232
	ds_read2_b32 v[16:17], v20 offset0:32 offset1:248
	;; [unrolled: 1-line block ×3, first 2 shown]
	ds_read2_b32 v[26:27], v22 offset1:216
	ds_read2_b32 v[28:29], v23 offset0:16 offset1:232
	v_add_co_u32 v30, s0, 0x2000, v34
	v_add_co_ci_u32_e64 v31, s0, 0, v35, s0
	v_add_co_u32 v32, s0, 0x1000, v34
	v_add_co_ci_u32_e64 v33, s0, 0, v35, s0
	;; [unrolled: 2-line block ×3, first 2 shown]
	s_waitcnt vmcnt(0) lgkmcnt(0)
	s_barrier
	v_lshrrev_b32_e32 v37, 16, v6
	v_lshrrev_b32_e32 v44, 16, v14
	;; [unrolled: 1-line block ×12, first 2 shown]
	buffer_gl0_inv
	v_mul_f16_sdwa v49, v0, v44 dst_sel:DWORD dst_unused:UNUSED_PAD src0_sel:WORD_1 src1_sel:DWORD
	v_mul_f16_sdwa v51, v1, v45 dst_sel:DWORD dst_unused:UNUSED_PAD src0_sel:WORD_1 src1_sel:DWORD
	v_mul_f16_sdwa v54, v2, v46 dst_sel:DWORD dst_unused:UNUSED_PAD src0_sel:WORD_1 src1_sel:DWORD
	v_mul_f16_sdwa v56, v40, v1 dst_sel:DWORD dst_unused:UNUSED_PAD src0_sel:DWORD src1_sel:WORD_1
	v_mul_f16_sdwa v50, v0, v14 dst_sel:DWORD dst_unused:UNUSED_PAD src0_sel:WORD_1 src1_sel:DWORD
	v_mul_f16_sdwa v52, v1, v16 dst_sel:DWORD dst_unused:UNUSED_PAD src0_sel:WORD_1 src1_sel:DWORD
	v_mul_f16_sdwa v53, v39, v0 dst_sel:DWORD dst_unused:UNUSED_PAD src0_sel:DWORD src1_sel:WORD_1
	v_mul_f16_sdwa v55, v2, v24 dst_sel:DWORD dst_unused:UNUSED_PAD src0_sel:WORD_1 src1_sel:DWORD
	v_mul_f16_sdwa v57, v15, v0 dst_sel:DWORD dst_unused:UNUSED_PAD src0_sel:DWORD src1_sel:WORD_1
	v_mul_f16_sdwa v60, v3, v47 dst_sel:DWORD dst_unused:UNUSED_PAD src0_sel:WORD_1 src1_sel:DWORD
	v_mul_f16_sdwa v62, v3, v26 dst_sel:DWORD dst_unused:UNUSED_PAD src0_sel:WORD_1 src1_sel:DWORD
	;; [unrolled: 1-line block ×3, first 2 shown]
	v_fma_f16 v14, v0, v14, -v49
	v_mul_f16_sdwa v49, v36, v28 dst_sel:DWORD dst_unused:UNUSED_PAD src0_sel:WORD_1 src1_sel:DWORD
	v_mul_f16_sdwa v58, v41, v2 dst_sel:DWORD dst_unused:UNUSED_PAD src0_sel:DWORD src1_sel:WORD_1
	v_mul_f16_sdwa v59, v17, v1 dst_sel:DWORD dst_unused:UNUSED_PAD src0_sel:DWORD src1_sel:WORD_1
	;; [unrolled: 1-line block ×3, first 2 shown]
	v_fma_f16 v16, v1, v16, -v51
	v_fma_f16 v17, v17, v1, -v56
	v_mul_f16_sdwa v51, v27, v3 dst_sel:DWORD dst_unused:UNUSED_PAD src0_sel:DWORD src1_sel:WORD_1
	v_mul_f16_sdwa v56, v43, v36 dst_sel:DWORD dst_unused:UNUSED_PAD src0_sel:DWORD src1_sel:WORD_1
	v_fma_f16 v24, v2, v24, -v54
	v_mul_f16_sdwa v54, v29, v36 dst_sel:DWORD dst_unused:UNUSED_PAD src0_sel:DWORD src1_sel:WORD_1
	v_fma_f16 v15, v15, v0, -v53
	v_mul_f16_sdwa v53, v42, v3 dst_sel:DWORD dst_unused:UNUSED_PAD src0_sel:DWORD src1_sel:WORD_1
	v_fmac_f16_e32 v50, v0, v44
	v_fmac_f16_e32 v52, v1, v45
	;; [unrolled: 1-line block ×6, first 2 shown]
	v_fma_f16 v0, v3, v26, -v60
	v_fma_f16 v26, v36, v28, -v63
	;; [unrolled: 1-line block ×3, first 2 shown]
	v_fmac_f16_e32 v59, v40, v1
	v_fmac_f16_e32 v61, v41, v2
	v_fmac_f16_e32 v51, v42, v3
	v_fma_f16 v2, v29, v36, -v56
	v_fmac_f16_e32 v54, v43, v36
	v_fma_f16 v1, v27, v3, -v53
	v_add_f16_e32 v27, v16, v0
	v_add_f16_e32 v36, v52, v62
	;; [unrolled: 1-line block ×10, first 2 shown]
	v_sub_f16_e32 v28, v52, v62
	v_sub_f16_e32 v16, v16, v0
	v_add_f16_e32 v39, v14, v24
	v_sub_f16_e32 v41, v55, v49
	v_sub_f16_e32 v24, v24, v26
	v_add_f16_e32 v44, v7, v17
	v_add_f16_e32 v47, v38, v59
	;; [unrolled: 1-line block ×4, first 2 shown]
	v_fmac_f16_e32 v37, -0.5, v36
	v_fma_f16 v6, -0.5, v27, v6
	v_fmac_f16_e32 v14, -0.5, v40
	v_fmac_f16_e32 v50, -0.5, v43
	v_add_f16_e32 v45, v17, v1
	v_sub_f16_e32 v17, v17, v1
	v_sub_f16_e32 v55, v61, v54
	;; [unrolled: 1-line block ×3, first 2 shown]
	v_add_f16_e32 v0, v3, v0
	v_add_f16_e32 v3, v29, v62
	;; [unrolled: 1-line block ×3, first 2 shown]
	v_fmac_f16_e32 v38, -0.5, v48
	v_fmac_f16_e32 v15, -0.5, v53
	;; [unrolled: 1-line block ×3, first 2 shown]
	v_add_f16_e32 v26, v39, v26
	v_add_f16_e32 v1, v44, v1
	;; [unrolled: 1-line block ×5, first 2 shown]
	v_fmamk_f16 v39, v28, 0x3aee, v6
	v_fmac_f16_e32 v6, 0xbaee, v28
	v_fmamk_f16 v28, v16, 0xbaee, v37
	v_fmac_f16_e32 v37, 0x3aee, v16
	v_fmamk_f16 v16, v41, 0x3aee, v14
	v_fmamk_f16 v40, v24, 0xbaee, v50
	v_fmac_f16_e32 v14, 0xbaee, v41
	v_fmac_f16_e32 v50, 0x3aee, v24
	v_sub_f16_e32 v46, v59, v51
	v_fmac_f16_e32 v7, -0.5, v45
	v_add_f16_e32 v41, v3, v27
	v_sub_f16_e32 v3, v3, v27
	v_fmamk_f16 v27, v17, 0xbaee, v38
	v_fmac_f16_e32 v38, 0x3aee, v17
	v_fmamk_f16 v17, v55, 0x3aee, v15
	v_fmamk_f16 v42, v25, 0xbaee, v57
	v_fmac_f16_e32 v15, 0xbaee, v55
	v_fmac_f16_e32 v57, 0x3aee, v25
	v_add_f16_e32 v25, v1, v2
	v_add_f16_e32 v43, v29, v36
	v_sub_f16_e32 v1, v1, v2
	v_sub_f16_e32 v2, v29, v36
	v_mul_f16_e32 v29, 0x3aee, v40
	v_mul_f16_e32 v44, 0xbaee, v16
	v_mul_f16_e32 v36, -0.5, v14
	v_mul_f16_e32 v45, -0.5, v50
	v_add_f16_e32 v24, v0, v26
	v_sub_f16_e32 v0, v0, v26
	v_fmamk_f16 v26, v46, 0x3aee, v7
	v_fmac_f16_e32 v7, 0xbaee, v46
	v_mul_f16_e32 v46, 0x3aee, v42
	v_mul_f16_e32 v48, 0xbaee, v17
	v_mul_f16_e32 v47, -0.5, v15
	v_mul_f16_e32 v49, -0.5, v57
	v_fmac_f16_e32 v29, 0.5, v16
	v_fmac_f16_e32 v44, 0.5, v40
	v_fmac_f16_e32 v36, 0x3aee, v50
	v_fmac_f16_e32 v45, 0xbaee, v14
	v_fmac_f16_e32 v46, 0.5, v17
	v_fmac_f16_e32 v48, 0.5, v42
	v_fmac_f16_e32 v47, 0x3aee, v57
	v_fmac_f16_e32 v49, 0xbaee, v15
	v_pack_b32_f16 v1, v1, v2
	v_add_f16_e32 v2, v39, v29
	v_add_f16_e32 v15, v28, v44
	;; [unrolled: 1-line block ×4, first 2 shown]
	v_pack_b32_f16 v0, v0, v3
	v_pack_b32_f16 v3, v25, v43
	v_sub_f16_e32 v17, v39, v29
	v_sub_f16_e32 v6, v6, v36
	;; [unrolled: 1-line block ×4, first 2 shown]
	v_add_f16_e32 v29, v26, v46
	v_add_f16_e32 v37, v27, v48
	v_add_f16_e32 v36, v7, v47
	v_add_f16_e32 v39, v38, v49
	v_sub_f16_e32 v26, v26, v46
	v_sub_f16_e32 v27, v27, v48
	v_pack_b32_f16 v24, v24, v41
	v_sub_f16_e32 v7, v7, v47
	v_sub_f16_e32 v38, v38, v49
	v_pack_b32_f16 v2, v2, v15
	v_pack_b32_f16 v14, v14, v16
	v_pack_b32_f16 v15, v17, v25
	v_pack_b32_f16 v6, v6, v28
	v_pack_b32_f16 v16, v29, v37
	v_pack_b32_f16 v17, v36, v39
	v_pack_b32_f16 v25, v26, v27
	v_pack_b32_f16 v7, v7, v38
	ds_write2_b32 v18, v24, v2 offset1:216
	ds_write2_b32 v19, v14, v0 offset0:16 offset1:232
	ds_write2_b32 v20, v15, v6 offset0:32 offset1:248
	;; [unrolled: 1-line block ×3, first 2 shown]
	ds_write2_b32 v22, v17, v1 offset1:216
	ds_write2_b32 v23, v25, v7 offset0:16 offset1:232
	s_waitcnt lgkmcnt(0)
	s_barrier
	buffer_gl0_inv
	s_clause 0x5
	global_load_dword v24, v[4:5], off offset:1064
	global_load_dword v25, v[32:33], off offset:1928
	;; [unrolled: 1-line block ×6, first 2 shown]
	ds_read2_b32 v[0:1], v21 offset0:16 offset1:232
	ds_read2_b32 v[2:3], v22 offset1:216
	ds_read2_b32 v[4:5], v23 offset0:16 offset1:232
	ds_read2_b32 v[6:7], v18 offset1:216
	ds_read2_b32 v[14:15], v19 offset0:16 offset1:232
	ds_read2_b32 v[16:17], v20 offset0:32 offset1:248
	s_waitcnt vmcnt(0) lgkmcnt(0)
	s_barrier
	buffer_gl0_inv
	v_pk_mul_f16 v30, v24, v0 op_sel:[0,1]
	v_pk_mul_f16 v31, v25, v1 op_sel:[0,1]
	;; [unrolled: 1-line block ×6, first 2 shown]
	v_pk_fma_f16 v36, v24, v0, v30 op_sel:[0,0,1] op_sel_hi:[1,1,0] neg_lo:[0,0,1] neg_hi:[0,0,1]
	v_pk_fma_f16 v0, v24, v0, v30 op_sel:[0,0,1] op_sel_hi:[1,0,0]
	v_pk_fma_f16 v24, v25, v1, v31 op_sel:[0,0,1] op_sel_hi:[1,1,0] neg_lo:[0,0,1] neg_hi:[0,0,1]
	v_pk_fma_f16 v1, v25, v1, v31 op_sel:[0,0,1] op_sel_hi:[1,0,0]
	;; [unrolled: 2-line block ×6, first 2 shown]
	v_bfi_b32 v0, 0xffff, v36, v0
	v_bfi_b32 v1, 0xffff, v24, v1
	;; [unrolled: 1-line block ×6, first 2 shown]
	v_pk_add_f16 v0, v6, v0 neg_lo:[0,1] neg_hi:[0,1]
	v_pk_add_f16 v1, v7, v1 neg_lo:[0,1] neg_hi:[0,1]
	;; [unrolled: 1-line block ×6, first 2 shown]
	v_pk_fma_f16 v6, v6, 2.0, v0 op_sel_hi:[1,0,1] neg_lo:[0,0,1] neg_hi:[0,0,1]
	v_pk_fma_f16 v7, v7, 2.0, v1 op_sel_hi:[1,0,1] neg_lo:[0,0,1] neg_hi:[0,0,1]
	;; [unrolled: 1-line block ×6, first 2 shown]
	ds_write2_b32 v21, v0, v1 offset0:16 offset1:232
	ds_write2_b32 v22, v2, v3 offset1:216
	ds_write2_b32 v23, v4, v5 offset0:16 offset1:232
	ds_write2_b32 v18, v6, v7 offset1:216
	ds_write2_b32 v19, v14, v15 offset0:16 offset1:232
	ds_write2_b32 v20, v16, v17 offset0:32 offset1:248
	s_waitcnt lgkmcnt(0)
	s_barrier
	buffer_gl0_inv
	s_and_saveexec_b32 s0, vcc_lo
	s_cbranch_execz .LBB0_21
; %bb.20:
	v_mul_lo_u32 v4, s3, v12
	v_mul_lo_u32 v5, s2, v13
	v_mad_u64_u32 v[0:1], null, s2, v12, 0
	v_lshl_add_u32 v18, v10, 2, 0
	v_lshlrev_b64 v[2:3], 2, v[8:9]
	v_add_nc_u32_e32 v6, 0xd8, v10
	v_mov_b32_e32 v7, v11
	v_add_nc_u32_e32 v8, 0x1b0, v10
	v_add_nc_u32_e32 v14, 0x680, v18
	v_add3_u32 v1, v1, v5, v4
	ds_read2_b32 v[12:13], v18 offset1:216
	v_lshlrev_b64 v[4:5], 2, v[10:11]
	v_mov_b32_e32 v9, v11
	v_lshlrev_b64 v[6:7], 2, v[6:7]
	v_lshlrev_b64 v[0:1], 2, v[0:1]
	v_mov_b32_e32 v17, v11
	v_add_co_u32 v15, vcc_lo, s10, v0
	v_add_co_ci_u32_e32 v16, vcc_lo, s11, v1, vcc_lo
	ds_read2_b32 v[0:1], v14 offset0:16 offset1:232
	v_add_co_u32 v19, vcc_lo, v15, v2
	v_add_co_ci_u32_e32 v20, vcc_lo, v16, v3, vcc_lo
	v_lshlrev_b64 v[2:3], 2, v[8:9]
	v_add_co_u32 v4, vcc_lo, v19, v4
	v_add_co_ci_u32_e32 v5, vcc_lo, v20, v5, vcc_lo
	v_add_co_u32 v6, vcc_lo, v19, v6
	v_add_co_ci_u32_e32 v7, vcc_lo, v20, v7, vcc_lo
	;; [unrolled: 2-line block ×3, first 2 shown]
	v_add_nc_u32_e32 v8, 0x288, v10
	s_waitcnt lgkmcnt(1)
	global_store_dword v[4:5], v12, off
	global_store_dword v[6:7], v13, off
	s_waitcnt lgkmcnt(0)
	global_store_dword v[2:3], v0, off
	v_add_nc_u32_e32 v0, 0xd00, v18
	v_add_nc_u32_e32 v13, 0x1400, v18
	;; [unrolled: 1-line block ×3, first 2 shown]
	v_mov_b32_e32 v5, v11
	v_lshlrev_b64 v[2:3], 2, v[8:9]
	ds_read2_b32 v[8:9], v0 offset0:32 offset1:248
	v_add_nc_u32_e32 v6, 0x438, v10
	v_mov_b32_e32 v7, v11
	ds_read2_b32 v[14:15], v13 offset0:16 offset1:232
	v_lshlrev_b64 v[4:5], 2, v[4:5]
	v_add_nc_u32_e32 v12, 0x510, v10
	v_mov_b32_e32 v13, v11
	v_add_co_u32 v2, vcc_lo, v19, v2
	v_lshlrev_b64 v[6:7], 2, v[6:7]
	v_add_co_ci_u32_e32 v3, vcc_lo, v20, v3, vcc_lo
	v_add_co_u32 v4, vcc_lo, v19, v4
	v_lshlrev_b64 v[12:13], 2, v[12:13]
	v_add_co_ci_u32_e32 v5, vcc_lo, v20, v5, vcc_lo
	v_add_co_u32 v6, vcc_lo, v19, v6
	v_add_co_ci_u32_e32 v7, vcc_lo, v20, v7, vcc_lo
	v_add_co_u32 v12, vcc_lo, v19, v12
	v_add_co_ci_u32_e32 v13, vcc_lo, v20, v13, vcc_lo
	v_add_nc_u32_e32 v16, 0x5e8, v10
	global_store_dword v[2:3], v1, off
	s_waitcnt lgkmcnt(1)
	global_store_dword v[4:5], v8, off
	global_store_dword v[6:7], v9, off
	s_waitcnt lgkmcnt(0)
	global_store_dword v[12:13], v14, off
	v_add_nc_u32_e32 v6, 0x1b00, v18
	v_add_nc_u32_e32 v2, 0x6c0, v10
	v_mov_b32_e32 v3, v11
	v_add_nc_u32_e32 v12, 0x2180, v18
	v_lshlrev_b64 v[0:1], 2, v[16:17]
	v_add_nc_u32_e32 v4, 0x798, v10
	v_mov_b32_e32 v5, v11
	ds_read2_b32 v[6:7], v6 offset1:216
	v_lshlrev_b64 v[2:3], 2, v[2:3]
	v_add_nc_u32_e32 v8, 0x870, v10
	v_mov_b32_e32 v9, v11
	ds_read2_b32 v[12:13], v12 offset0:16 offset1:232
	v_add_co_u32 v0, vcc_lo, v19, v0
	v_lshlrev_b64 v[4:5], 2, v[4:5]
	v_add_nc_u32_e32 v10, 0x948, v10
	v_add_co_ci_u32_e32 v1, vcc_lo, v20, v1, vcc_lo
	v_add_co_u32 v2, vcc_lo, v19, v2
	v_lshlrev_b64 v[8:9], 2, v[8:9]
	v_add_co_ci_u32_e32 v3, vcc_lo, v20, v3, vcc_lo
	v_add_co_u32 v4, vcc_lo, v19, v4
	v_lshlrev_b64 v[10:11], 2, v[10:11]
	v_add_co_ci_u32_e32 v5, vcc_lo, v20, v5, vcc_lo
	v_add_co_u32 v8, vcc_lo, v19, v8
	v_add_co_ci_u32_e32 v9, vcc_lo, v20, v9, vcc_lo
	v_add_co_u32 v10, vcc_lo, v19, v10
	v_add_co_ci_u32_e32 v11, vcc_lo, v20, v11, vcc_lo
	global_store_dword v[0:1], v15, off
	s_waitcnt lgkmcnt(1)
	global_store_dword v[2:3], v6, off
	global_store_dword v[4:5], v7, off
	s_waitcnt lgkmcnt(0)
	global_store_dword v[8:9], v12, off
	global_store_dword v[10:11], v13, off
.LBB0_21:
	s_endpgm
	.section	.rodata,"a",@progbits
	.p2align	6, 0x0
	.amdhsa_kernel fft_rtc_fwd_len2592_factors_6_6_6_6_2_wgs_216_tpt_216_halfLds_half_op_CI_CI_unitstride_sbrr_C2R_dirReg
		.amdhsa_group_segment_fixed_size 0
		.amdhsa_private_segment_fixed_size 0
		.amdhsa_kernarg_size 104
		.amdhsa_user_sgpr_count 6
		.amdhsa_user_sgpr_private_segment_buffer 1
		.amdhsa_user_sgpr_dispatch_ptr 0
		.amdhsa_user_sgpr_queue_ptr 0
		.amdhsa_user_sgpr_kernarg_segment_ptr 1
		.amdhsa_user_sgpr_dispatch_id 0
		.amdhsa_user_sgpr_flat_scratch_init 0
		.amdhsa_user_sgpr_private_segment_size 0
		.amdhsa_wavefront_size32 1
		.amdhsa_uses_dynamic_stack 0
		.amdhsa_system_sgpr_private_segment_wavefront_offset 0
		.amdhsa_system_sgpr_workgroup_id_x 1
		.amdhsa_system_sgpr_workgroup_id_y 0
		.amdhsa_system_sgpr_workgroup_id_z 0
		.amdhsa_system_sgpr_workgroup_info 0
		.amdhsa_system_vgpr_workitem_id 0
		.amdhsa_next_free_vgpr 64
		.amdhsa_next_free_sgpr 27
		.amdhsa_reserve_vcc 1
		.amdhsa_reserve_flat_scratch 0
		.amdhsa_float_round_mode_32 0
		.amdhsa_float_round_mode_16_64 0
		.amdhsa_float_denorm_mode_32 3
		.amdhsa_float_denorm_mode_16_64 3
		.amdhsa_dx10_clamp 1
		.amdhsa_ieee_mode 1
		.amdhsa_fp16_overflow 0
		.amdhsa_workgroup_processor_mode 1
		.amdhsa_memory_ordered 1
		.amdhsa_forward_progress 0
		.amdhsa_shared_vgpr_count 0
		.amdhsa_exception_fp_ieee_invalid_op 0
		.amdhsa_exception_fp_denorm_src 0
		.amdhsa_exception_fp_ieee_div_zero 0
		.amdhsa_exception_fp_ieee_overflow 0
		.amdhsa_exception_fp_ieee_underflow 0
		.amdhsa_exception_fp_ieee_inexact 0
		.amdhsa_exception_int_div_zero 0
	.end_amdhsa_kernel
	.text
.Lfunc_end0:
	.size	fft_rtc_fwd_len2592_factors_6_6_6_6_2_wgs_216_tpt_216_halfLds_half_op_CI_CI_unitstride_sbrr_C2R_dirReg, .Lfunc_end0-fft_rtc_fwd_len2592_factors_6_6_6_6_2_wgs_216_tpt_216_halfLds_half_op_CI_CI_unitstride_sbrr_C2R_dirReg
                                        ; -- End function
	.section	.AMDGPU.csdata,"",@progbits
; Kernel info:
; codeLenInByte = 8456
; NumSgprs: 29
; NumVgprs: 64
; ScratchSize: 0
; MemoryBound: 0
; FloatMode: 240
; IeeeMode: 1
; LDSByteSize: 0 bytes/workgroup (compile time only)
; SGPRBlocks: 3
; VGPRBlocks: 7
; NumSGPRsForWavesPerEU: 29
; NumVGPRsForWavesPerEU: 64
; Occupancy: 16
; WaveLimiterHint : 1
; COMPUTE_PGM_RSRC2:SCRATCH_EN: 0
; COMPUTE_PGM_RSRC2:USER_SGPR: 6
; COMPUTE_PGM_RSRC2:TRAP_HANDLER: 0
; COMPUTE_PGM_RSRC2:TGID_X_EN: 1
; COMPUTE_PGM_RSRC2:TGID_Y_EN: 0
; COMPUTE_PGM_RSRC2:TGID_Z_EN: 0
; COMPUTE_PGM_RSRC2:TIDIG_COMP_CNT: 0
	.text
	.p2alignl 6, 3214868480
	.fill 48, 4, 3214868480
	.type	__hip_cuid_10c8a8d74378a81d,@object ; @__hip_cuid_10c8a8d74378a81d
	.section	.bss,"aw",@nobits
	.globl	__hip_cuid_10c8a8d74378a81d
__hip_cuid_10c8a8d74378a81d:
	.byte	0                               ; 0x0
	.size	__hip_cuid_10c8a8d74378a81d, 1

	.ident	"AMD clang version 19.0.0git (https://github.com/RadeonOpenCompute/llvm-project roc-6.4.0 25133 c7fe45cf4b819c5991fe208aaa96edf142730f1d)"
	.section	".note.GNU-stack","",@progbits
	.addrsig
	.addrsig_sym __hip_cuid_10c8a8d74378a81d
	.amdgpu_metadata
---
amdhsa.kernels:
  - .args:
      - .actual_access:  read_only
        .address_space:  global
        .offset:         0
        .size:           8
        .value_kind:     global_buffer
      - .offset:         8
        .size:           8
        .value_kind:     by_value
      - .actual_access:  read_only
        .address_space:  global
        .offset:         16
        .size:           8
        .value_kind:     global_buffer
      - .actual_access:  read_only
        .address_space:  global
        .offset:         24
        .size:           8
        .value_kind:     global_buffer
      - .actual_access:  read_only
        .address_space:  global
        .offset:         32
        .size:           8
        .value_kind:     global_buffer
      - .offset:         40
        .size:           8
        .value_kind:     by_value
      - .actual_access:  read_only
        .address_space:  global
        .offset:         48
        .size:           8
        .value_kind:     global_buffer
      - .actual_access:  read_only
        .address_space:  global
        .offset:         56
        .size:           8
        .value_kind:     global_buffer
      - .offset:         64
        .size:           4
        .value_kind:     by_value
      - .actual_access:  read_only
        .address_space:  global
        .offset:         72
        .size:           8
        .value_kind:     global_buffer
      - .actual_access:  read_only
        .address_space:  global
        .offset:         80
        .size:           8
        .value_kind:     global_buffer
      - .actual_access:  read_only
        .address_space:  global
        .offset:         88
        .size:           8
        .value_kind:     global_buffer
      - .actual_access:  write_only
        .address_space:  global
        .offset:         96
        .size:           8
        .value_kind:     global_buffer
    .group_segment_fixed_size: 0
    .kernarg_segment_align: 8
    .kernarg_segment_size: 104
    .language:       OpenCL C
    .language_version:
      - 2
      - 0
    .max_flat_workgroup_size: 216
    .name:           fft_rtc_fwd_len2592_factors_6_6_6_6_2_wgs_216_tpt_216_halfLds_half_op_CI_CI_unitstride_sbrr_C2R_dirReg
    .private_segment_fixed_size: 0
    .sgpr_count:     29
    .sgpr_spill_count: 0
    .symbol:         fft_rtc_fwd_len2592_factors_6_6_6_6_2_wgs_216_tpt_216_halfLds_half_op_CI_CI_unitstride_sbrr_C2R_dirReg.kd
    .uniform_work_group_size: 1
    .uses_dynamic_stack: false
    .vgpr_count:     64
    .vgpr_spill_count: 0
    .wavefront_size: 32
    .workgroup_processor_mode: 1
amdhsa.target:   amdgcn-amd-amdhsa--gfx1030
amdhsa.version:
  - 1
  - 2
...

	.end_amdgpu_metadata
